;; amdgpu-corpus repo=ParRes/Kernels kind=compiled arch=gfx1201 opt=O3
	.text
	.amdgcn_target "amdgcn-amd-amdhsa--gfx1201"
	.amdhsa_code_object_version 6
	.protected	_Z23transposeNoBankConflictiPdS_ ; -- Begin function _Z23transposeNoBankConflictiPdS_
	.globl	_Z23transposeNoBankConflictiPdS_
	.p2align	8
	.type	_Z23transposeNoBankConflictiPdS_,@function
_Z23transposeNoBankConflictiPdS_:       ; @_Z23transposeNoBankConflictiPdS_
; %bb.0:
	s_load_b32 s4, s[0:1], 0x18
	v_bfe_u32 v24, v0, 10, 10
	s_lshl_b32 s5, ttmp7, 6
	s_load_b128 s[0:3], s[0:1], 0x8
	v_and_b32_e32 v25, 0x3ff, v0
	s_lshl_b32 s7, ttmp9, 6
	v_add_nc_u32_e32 v1, s5, v24
	s_delay_alu instid0(VALU_DEP_2) | instskip(NEXT) | instid1(VALU_DEP_1)
	v_lshlrev_b32_e32 v26, 3, v25
	v_mad_u32_u24 v26, 0x208, v24, v26
	s_wait_kmcnt 0x0
	s_lshl_b32 s6, s4, 6
	s_lshl_b32 s4, s4, 9
	v_mul_lo_u32 v1, v1, s6
	s_delay_alu instid0(VALU_DEP_1) | instskip(SKIP_1) | instid1(VALU_DEP_1)
	v_add3_u32 v4, s7, v25, v1
	v_mov_b32_e32 v5, 0
	v_lshlrev_b64_e32 v[0:1], 3, v[4:5]
	s_wait_alu 0xfffe
	v_add_nc_u32_e32 v4, s4, v4
	s_delay_alu instid0(VALU_DEP_1) | instskip(NEXT) | instid1(VALU_DEP_3)
	v_lshlrev_b64_e32 v[8:9], 3, v[4:5]
	v_add_co_u32 v0, vcc_lo, s0, v0
	s_delay_alu instid0(VALU_DEP_4) | instskip(SKIP_1) | instid1(VALU_DEP_4)
	v_add_co_ci_u32_e32 v1, vcc_lo, s1, v1, vcc_lo
	v_add_nc_u32_e32 v4, s4, v4
	v_add_co_u32 v8, vcc_lo, s0, v8
	global_load_b64 v[2:3], v[0:1], off
	s_wait_alu 0xfffd
	v_add_co_ci_u32_e32 v9, vcc_lo, s1, v9, vcc_lo
	v_lshlrev_b64_e32 v[10:11], 3, v[4:5]
	v_add_nc_u32_e32 v4, s4, v4
	s_delay_alu instid0(VALU_DEP_2) | instskip(SKIP_1) | instid1(VALU_DEP_3)
	v_add_co_u32 v10, vcc_lo, s0, v10
	s_wait_alu 0xfffd
	v_add_co_ci_u32_e32 v11, vcc_lo, s1, v11, vcc_lo
	s_delay_alu instid0(VALU_DEP_3) | instskip(SKIP_1) | instid1(VALU_DEP_2)
	v_lshlrev_b64_e32 v[12:13], 3, v[4:5]
	v_add_nc_u32_e32 v4, s4, v4
	v_add_co_u32 v12, vcc_lo, s0, v12
	s_wait_alu 0xfffd
	s_delay_alu instid0(VALU_DEP_3) | instskip(NEXT) | instid1(VALU_DEP_3)
	v_add_co_ci_u32_e32 v13, vcc_lo, s1, v13, vcc_lo
	v_lshlrev_b64_e32 v[14:15], 3, v[4:5]
	v_add_nc_u32_e32 v4, s4, v4
	s_delay_alu instid0(VALU_DEP_2) | instskip(SKIP_1) | instid1(VALU_DEP_3)
	v_add_co_u32 v14, vcc_lo, s0, v14
	s_wait_alu 0xfffd
	v_add_co_ci_u32_e32 v15, vcc_lo, s1, v15, vcc_lo
	s_delay_alu instid0(VALU_DEP_3) | instskip(SKIP_1) | instid1(VALU_DEP_2)
	v_lshlrev_b64_e32 v[16:17], 3, v[4:5]
	v_add_nc_u32_e32 v4, s4, v4
	v_add_co_u32 v16, vcc_lo, s0, v16
	s_wait_alu 0xfffd
	s_delay_alu instid0(VALU_DEP_3) | instskip(NEXT) | instid1(VALU_DEP_3)
	;; [unrolled: 13-line block ×3, first 2 shown]
	v_add_co_ci_u32_e32 v21, vcc_lo, s1, v21, vcc_lo
	v_mul_lo_u32 v4, v4, s6
	s_delay_alu instid0(VALU_DEP_1) | instskip(NEXT) | instid1(VALU_DEP_1)
	v_add3_u32 v4, s5, v25, v4
	v_lshlrev_b64_e32 v[22:23], 3, v[4:5]
	v_add_nc_u32_e32 v4, s4, v4
	s_delay_alu instid0(VALU_DEP_2) | instskip(SKIP_1) | instid1(VALU_DEP_3)
	v_add_co_u32 v22, vcc_lo, s2, v22
	s_wait_alu 0xfffd
	v_add_co_ci_u32_e32 v23, vcc_lo, s3, v23, vcc_lo
	s_wait_loadcnt 0x0
	v_add_f64_e32 v[6:7], 1.0, v[2:3]
	global_store_b64 v[0:1], v[6:7], off
	global_load_b64 v[0:1], v[8:9], off
	s_wait_loadcnt 0x0
	v_add_f64_e32 v[6:7], 1.0, v[0:1]
	global_store_b64 v[8:9], v[6:7], off
	global_load_b64 v[6:7], v[10:11], off
	;; [unrolled: 4-line block ×7, first 2 shown]
	ds_store_b64 v26, v[2:3]
	ds_store_b64 v26, v[0:1] offset:4160
	ds_store_b64 v26, v[6:7] offset:8320
	;; [unrolled: 1-line block ×6, first 2 shown]
	s_wait_loadcnt 0x0
	ds_store_b64 v26, v[16:17] offset:29120
	v_lshlrev_b32_e32 v0, 3, v24
	s_delay_alu instid0(VALU_DEP_1)
	v_mad_u32_u24 v10, 0x208, v25, v0
	v_add_f64_e32 v[18:19], 1.0, v[16:17]
	global_store_b64 v[20:21], v[18:19], off
	global_wb scope:SCOPE_SE
	s_wait_storecnt_dscnt 0x0
	s_barrier_signal -1
	s_barrier_wait -1
	global_inv scope:SCOPE_SE
	global_load_b64 v[6:7], v[22:23], off
	ds_load_2addr_b64 v[0:3], v10 offset1:8
	s_wait_loadcnt_dscnt 0x0
	v_add_f64_e32 v[0:1], v[0:1], v[6:7]
	v_lshlrev_b64_e32 v[6:7], 3, v[4:5]
	v_add_nc_u32_e32 v4, s4, v4
	s_delay_alu instid0(VALU_DEP_2) | instskip(SKIP_1) | instid1(VALU_DEP_3)
	v_add_co_u32 v6, vcc_lo, s2, v6
	s_wait_alu 0xfffd
	v_add_co_ci_u32_e32 v7, vcc_lo, s3, v7, vcc_lo
	global_store_b64 v[22:23], v[0:1], off
	global_load_b64 v[0:1], v[6:7], off
	s_wait_loadcnt 0x0
	v_add_f64_e32 v[0:1], v[2:3], v[0:1]
	v_lshlrev_b64_e32 v[2:3], 3, v[4:5]
	v_add_nc_u32_e32 v4, s4, v4
	s_delay_alu instid0(VALU_DEP_2) | instskip(SKIP_1) | instid1(VALU_DEP_3)
	v_add_co_u32 v8, vcc_lo, s2, v2
	s_wait_alu 0xfffd
	v_add_co_ci_u32_e32 v9, vcc_lo, s3, v3, vcc_lo
	global_store_b64 v[6:7], v[0:1], off
	global_load_b64 v[6:7], v[8:9], off
	ds_load_2addr_b64 v[0:3], v10 offset0:16 offset1:24
	s_wait_loadcnt_dscnt 0x0
	v_add_f64_e32 v[0:1], v[0:1], v[6:7]
	v_lshlrev_b64_e32 v[6:7], 3, v[4:5]
	v_add_nc_u32_e32 v4, s4, v4
	s_delay_alu instid0(VALU_DEP_2) | instskip(SKIP_1) | instid1(VALU_DEP_3)
	v_add_co_u32 v6, vcc_lo, s2, v6
	s_wait_alu 0xfffd
	v_add_co_ci_u32_e32 v7, vcc_lo, s3, v7, vcc_lo
	global_store_b64 v[8:9], v[0:1], off
	global_load_b64 v[0:1], v[6:7], off
	s_wait_loadcnt 0x0
	v_add_f64_e32 v[0:1], v[2:3], v[0:1]
	v_lshlrev_b64_e32 v[2:3], 3, v[4:5]
	v_add_nc_u32_e32 v4, s4, v4
	s_delay_alu instid0(VALU_DEP_2) | instskip(SKIP_1) | instid1(VALU_DEP_3)
	v_add_co_u32 v8, vcc_lo, s2, v2
	s_wait_alu 0xfffd
	v_add_co_ci_u32_e32 v9, vcc_lo, s3, v3, vcc_lo
	global_store_b64 v[6:7], v[0:1], off
	global_load_b64 v[6:7], v[8:9], off
	ds_load_2addr_b64 v[0:3], v10 offset0:32 offset1:40
	s_wait_loadcnt_dscnt 0x0
	v_add_f64_e32 v[0:1], v[0:1], v[6:7]
	v_lshlrev_b64_e32 v[6:7], 3, v[4:5]
	v_add_nc_u32_e32 v4, s4, v4
	s_delay_alu instid0(VALU_DEP_2) | instskip(SKIP_1) | instid1(VALU_DEP_3)
	v_add_co_u32 v6, vcc_lo, s2, v6
	s_wait_alu 0xfffd
	v_add_co_ci_u32_e32 v7, vcc_lo, s3, v7, vcc_lo
	global_store_b64 v[8:9], v[0:1], off
	global_load_b64 v[0:1], v[6:7], off
	s_wait_loadcnt 0x0
	v_add_f64_e32 v[0:1], v[2:3], v[0:1]
	v_lshlrev_b64_e32 v[2:3], 3, v[4:5]
	v_add_nc_u32_e32 v4, s4, v4
	s_delay_alu instid0(VALU_DEP_2) | instskip(SKIP_1) | instid1(VALU_DEP_3)
	v_add_co_u32 v8, vcc_lo, s2, v2
	s_wait_alu 0xfffd
	v_add_co_ci_u32_e32 v9, vcc_lo, s3, v3, vcc_lo
	s_delay_alu instid0(VALU_DEP_3) | instskip(NEXT) | instid1(VALU_DEP_1)
	v_lshlrev_b64_e32 v[4:5], 3, v[4:5]
	v_add_co_u32 v4, vcc_lo, s2, v4
	s_wait_alu 0xfffd
	s_delay_alu instid0(VALU_DEP_2)
	v_add_co_ci_u32_e32 v5, vcc_lo, s3, v5, vcc_lo
	global_store_b64 v[6:7], v[0:1], off
	global_load_b64 v[6:7], v[8:9], off
	ds_load_2addr_b64 v[0:3], v10 offset0:48 offset1:56
	s_wait_loadcnt_dscnt 0x0
	v_add_f64_e32 v[0:1], v[0:1], v[6:7]
	global_store_b64 v[8:9], v[0:1], off
	global_load_b64 v[0:1], v[4:5], off
	s_wait_loadcnt 0x0
	v_add_f64_e32 v[0:1], v[2:3], v[0:1]
	global_store_b64 v[4:5], v[0:1], off
	s_nop 0
	s_sendmsg sendmsg(MSG_DEALLOC_VGPRS)
	s_endpgm
	.section	.rodata,"a",@progbits
	.p2align	6, 0x0
	.amdhsa_kernel _Z23transposeNoBankConflictiPdS_
		.amdhsa_group_segment_fixed_size 33280
		.amdhsa_private_segment_fixed_size 0
		.amdhsa_kernarg_size 280
		.amdhsa_user_sgpr_count 2
		.amdhsa_user_sgpr_dispatch_ptr 0
		.amdhsa_user_sgpr_queue_ptr 0
		.amdhsa_user_sgpr_kernarg_segment_ptr 1
		.amdhsa_user_sgpr_dispatch_id 0
		.amdhsa_user_sgpr_private_segment_size 0
		.amdhsa_wavefront_size32 1
		.amdhsa_uses_dynamic_stack 0
		.amdhsa_enable_private_segment 0
		.amdhsa_system_sgpr_workgroup_id_x 1
		.amdhsa_system_sgpr_workgroup_id_y 1
		.amdhsa_system_sgpr_workgroup_id_z 0
		.amdhsa_system_sgpr_workgroup_info 0
		.amdhsa_system_vgpr_workitem_id 1
		.amdhsa_next_free_vgpr 27
		.amdhsa_next_free_sgpr 8
		.amdhsa_reserve_vcc 1
		.amdhsa_float_round_mode_32 0
		.amdhsa_float_round_mode_16_64 0
		.amdhsa_float_denorm_mode_32 3
		.amdhsa_float_denorm_mode_16_64 3
		.amdhsa_fp16_overflow 0
		.amdhsa_workgroup_processor_mode 1
		.amdhsa_memory_ordered 1
		.amdhsa_forward_progress 0
		.amdhsa_round_robin_scheduling 0
		.amdhsa_exception_fp_ieee_invalid_op 0
		.amdhsa_exception_fp_denorm_src 0
		.amdhsa_exception_fp_ieee_div_zero 0
		.amdhsa_exception_fp_ieee_overflow 0
		.amdhsa_exception_fp_ieee_underflow 0
		.amdhsa_exception_fp_ieee_inexact 0
		.amdhsa_exception_int_div_zero 0
	.end_amdhsa_kernel
	.text
.Lfunc_end0:
	.size	_Z23transposeNoBankConflictiPdS_, .Lfunc_end0-_Z23transposeNoBankConflictiPdS_
                                        ; -- End function
	.section	.AMDGPU.csdata,"",@progbits
; Kernel info:
; codeLenInByte = 1256
; NumSgprs: 10
; NumVgprs: 27
; ScratchSize: 0
; MemoryBound: 1
; FloatMode: 240
; IeeeMode: 1
; LDSByteSize: 33280 bytes/workgroup (compile time only)
; SGPRBlocks: 1
; VGPRBlocks: 3
; NumSGPRsForWavesPerEU: 10
; NumVGPRsForWavesPerEU: 27
; Occupancy: 16
; WaveLimiterHint : 1
; COMPUTE_PGM_RSRC2:SCRATCH_EN: 0
; COMPUTE_PGM_RSRC2:USER_SGPR: 2
; COMPUTE_PGM_RSRC2:TRAP_HANDLER: 0
; COMPUTE_PGM_RSRC2:TGID_X_EN: 1
; COMPUTE_PGM_RSRC2:TGID_Y_EN: 1
; COMPUTE_PGM_RSRC2:TGID_Z_EN: 0
; COMPUTE_PGM_RSRC2:TIDIG_COMP_CNT: 1
	.text
	.protected	_Z18transposeCoalescediPdS_ ; -- Begin function _Z18transposeCoalescediPdS_
	.globl	_Z18transposeCoalescediPdS_
	.p2align	8
	.type	_Z18transposeCoalescediPdS_,@function
_Z18transposeCoalescediPdS_:            ; @_Z18transposeCoalescediPdS_
; %bb.0:
	s_load_b32 s4, s[0:1], 0x18
	v_bfe_u32 v24, v0, 10, 10
	s_lshl_b32 s5, ttmp7, 6
	s_load_b128 s[0:3], s[0:1], 0x8
	v_and_b32_e32 v25, 0x3ff, v0
	s_lshl_b32 s7, ttmp9, 6
	v_add_nc_u32_e32 v1, s5, v24
	s_delay_alu instid0(VALU_DEP_2) | instskip(NEXT) | instid1(VALU_DEP_1)
	v_lshlrev_b32_e32 v26, 3, v25
	v_lshl_add_u32 v26, v24, 9, v26
	s_wait_kmcnt 0x0
	s_lshl_b32 s6, s4, 6
	s_lshl_b32 s4, s4, 9
	v_mul_lo_u32 v1, v1, s6
	s_delay_alu instid0(VALU_DEP_1) | instskip(SKIP_1) | instid1(VALU_DEP_1)
	v_add3_u32 v4, s7, v25, v1
	v_mov_b32_e32 v5, 0
	v_lshlrev_b64_e32 v[0:1], 3, v[4:5]
	s_wait_alu 0xfffe
	v_add_nc_u32_e32 v4, s4, v4
	s_delay_alu instid0(VALU_DEP_1) | instskip(NEXT) | instid1(VALU_DEP_3)
	v_lshlrev_b64_e32 v[8:9], 3, v[4:5]
	v_add_co_u32 v0, vcc_lo, s0, v0
	s_delay_alu instid0(VALU_DEP_4) | instskip(SKIP_1) | instid1(VALU_DEP_4)
	v_add_co_ci_u32_e32 v1, vcc_lo, s1, v1, vcc_lo
	v_add_nc_u32_e32 v4, s4, v4
	v_add_co_u32 v8, vcc_lo, s0, v8
	global_load_b64 v[2:3], v[0:1], off
	s_wait_alu 0xfffd
	v_add_co_ci_u32_e32 v9, vcc_lo, s1, v9, vcc_lo
	v_lshlrev_b64_e32 v[10:11], 3, v[4:5]
	v_add_nc_u32_e32 v4, s4, v4
	s_delay_alu instid0(VALU_DEP_2) | instskip(SKIP_1) | instid1(VALU_DEP_3)
	v_add_co_u32 v10, vcc_lo, s0, v10
	s_wait_alu 0xfffd
	v_add_co_ci_u32_e32 v11, vcc_lo, s1, v11, vcc_lo
	s_delay_alu instid0(VALU_DEP_3) | instskip(SKIP_1) | instid1(VALU_DEP_2)
	v_lshlrev_b64_e32 v[12:13], 3, v[4:5]
	v_add_nc_u32_e32 v4, s4, v4
	v_add_co_u32 v12, vcc_lo, s0, v12
	s_wait_alu 0xfffd
	s_delay_alu instid0(VALU_DEP_3) | instskip(NEXT) | instid1(VALU_DEP_3)
	v_add_co_ci_u32_e32 v13, vcc_lo, s1, v13, vcc_lo
	v_lshlrev_b64_e32 v[14:15], 3, v[4:5]
	v_add_nc_u32_e32 v4, s4, v4
	s_delay_alu instid0(VALU_DEP_2) | instskip(SKIP_1) | instid1(VALU_DEP_3)
	v_add_co_u32 v14, vcc_lo, s0, v14
	s_wait_alu 0xfffd
	v_add_co_ci_u32_e32 v15, vcc_lo, s1, v15, vcc_lo
	s_delay_alu instid0(VALU_DEP_3) | instskip(SKIP_1) | instid1(VALU_DEP_2)
	v_lshlrev_b64_e32 v[16:17], 3, v[4:5]
	v_add_nc_u32_e32 v4, s4, v4
	v_add_co_u32 v16, vcc_lo, s0, v16
	s_wait_alu 0xfffd
	s_delay_alu instid0(VALU_DEP_3) | instskip(NEXT) | instid1(VALU_DEP_3)
	;; [unrolled: 13-line block ×3, first 2 shown]
	v_add_co_ci_u32_e32 v21, vcc_lo, s1, v21, vcc_lo
	v_mul_lo_u32 v4, v4, s6
	s_delay_alu instid0(VALU_DEP_1) | instskip(NEXT) | instid1(VALU_DEP_1)
	v_add3_u32 v4, s5, v25, v4
	v_lshlrev_b64_e32 v[22:23], 3, v[4:5]
	v_add_nc_u32_e32 v4, s4, v4
	s_delay_alu instid0(VALU_DEP_2) | instskip(SKIP_1) | instid1(VALU_DEP_3)
	v_add_co_u32 v22, vcc_lo, s2, v22
	s_wait_alu 0xfffd
	v_add_co_ci_u32_e32 v23, vcc_lo, s3, v23, vcc_lo
	s_wait_loadcnt 0x0
	v_add_f64_e32 v[6:7], 1.0, v[2:3]
	global_store_b64 v[0:1], v[6:7], off
	global_load_b64 v[0:1], v[8:9], off
	s_wait_loadcnt 0x0
	v_add_f64_e32 v[6:7], 1.0, v[0:1]
	global_store_b64 v[8:9], v[6:7], off
	global_load_b64 v[6:7], v[10:11], off
	;; [unrolled: 4-line block ×7, first 2 shown]
	ds_store_2addr_stride64_b64 v26, v[2:3], v[0:1] offset1:8
	ds_store_2addr_stride64_b64 v26, v[6:7], v[8:9] offset0:16 offset1:24
	ds_store_2addr_stride64_b64 v26, v[10:11], v[12:13] offset0:32 offset1:40
	s_wait_loadcnt 0x0
	ds_store_2addr_stride64_b64 v26, v[14:15], v[16:17] offset0:48 offset1:56
	v_lshlrev_b32_e32 v0, 3, v24
	v_add_f64_e32 v[18:19], 1.0, v[16:17]
	s_delay_alu instid0(VALU_DEP_2)
	v_lshl_add_u32 v10, v25, 9, v0
	global_store_b64 v[20:21], v[18:19], off
	global_wb scope:SCOPE_SE
	s_wait_storecnt_dscnt 0x0
	s_barrier_signal -1
	s_barrier_wait -1
	global_inv scope:SCOPE_SE
	global_load_b64 v[6:7], v[22:23], off
	ds_load_2addr_b64 v[0:3], v10 offset1:8
	s_wait_loadcnt_dscnt 0x0
	v_add_f64_e32 v[0:1], v[0:1], v[6:7]
	v_lshlrev_b64_e32 v[6:7], 3, v[4:5]
	v_add_nc_u32_e32 v4, s4, v4
	s_delay_alu instid0(VALU_DEP_2) | instskip(SKIP_1) | instid1(VALU_DEP_3)
	v_add_co_u32 v6, vcc_lo, s2, v6
	s_wait_alu 0xfffd
	v_add_co_ci_u32_e32 v7, vcc_lo, s3, v7, vcc_lo
	global_store_b64 v[22:23], v[0:1], off
	global_load_b64 v[0:1], v[6:7], off
	s_wait_loadcnt 0x0
	v_add_f64_e32 v[0:1], v[2:3], v[0:1]
	v_lshlrev_b64_e32 v[2:3], 3, v[4:5]
	v_add_nc_u32_e32 v4, s4, v4
	s_delay_alu instid0(VALU_DEP_2) | instskip(SKIP_1) | instid1(VALU_DEP_3)
	v_add_co_u32 v8, vcc_lo, s2, v2
	s_wait_alu 0xfffd
	v_add_co_ci_u32_e32 v9, vcc_lo, s3, v3, vcc_lo
	global_store_b64 v[6:7], v[0:1], off
	global_load_b64 v[6:7], v[8:9], off
	ds_load_2addr_b64 v[0:3], v10 offset0:16 offset1:24
	s_wait_loadcnt_dscnt 0x0
	v_add_f64_e32 v[0:1], v[0:1], v[6:7]
	v_lshlrev_b64_e32 v[6:7], 3, v[4:5]
	v_add_nc_u32_e32 v4, s4, v4
	s_delay_alu instid0(VALU_DEP_2) | instskip(SKIP_1) | instid1(VALU_DEP_3)
	v_add_co_u32 v6, vcc_lo, s2, v6
	s_wait_alu 0xfffd
	v_add_co_ci_u32_e32 v7, vcc_lo, s3, v7, vcc_lo
	global_store_b64 v[8:9], v[0:1], off
	global_load_b64 v[0:1], v[6:7], off
	s_wait_loadcnt 0x0
	v_add_f64_e32 v[0:1], v[2:3], v[0:1]
	v_lshlrev_b64_e32 v[2:3], 3, v[4:5]
	v_add_nc_u32_e32 v4, s4, v4
	s_delay_alu instid0(VALU_DEP_2) | instskip(SKIP_1) | instid1(VALU_DEP_3)
	v_add_co_u32 v8, vcc_lo, s2, v2
	s_wait_alu 0xfffd
	v_add_co_ci_u32_e32 v9, vcc_lo, s3, v3, vcc_lo
	global_store_b64 v[6:7], v[0:1], off
	global_load_b64 v[6:7], v[8:9], off
	ds_load_2addr_b64 v[0:3], v10 offset0:32 offset1:40
	s_wait_loadcnt_dscnt 0x0
	v_add_f64_e32 v[0:1], v[0:1], v[6:7]
	v_lshlrev_b64_e32 v[6:7], 3, v[4:5]
	v_add_nc_u32_e32 v4, s4, v4
	s_delay_alu instid0(VALU_DEP_2) | instskip(SKIP_1) | instid1(VALU_DEP_3)
	v_add_co_u32 v6, vcc_lo, s2, v6
	s_wait_alu 0xfffd
	v_add_co_ci_u32_e32 v7, vcc_lo, s3, v7, vcc_lo
	global_store_b64 v[8:9], v[0:1], off
	global_load_b64 v[0:1], v[6:7], off
	s_wait_loadcnt 0x0
	v_add_f64_e32 v[0:1], v[2:3], v[0:1]
	v_lshlrev_b64_e32 v[2:3], 3, v[4:5]
	v_add_nc_u32_e32 v4, s4, v4
	s_delay_alu instid0(VALU_DEP_2) | instskip(SKIP_1) | instid1(VALU_DEP_3)
	v_add_co_u32 v8, vcc_lo, s2, v2
	s_wait_alu 0xfffd
	v_add_co_ci_u32_e32 v9, vcc_lo, s3, v3, vcc_lo
	s_delay_alu instid0(VALU_DEP_3) | instskip(NEXT) | instid1(VALU_DEP_1)
	v_lshlrev_b64_e32 v[4:5], 3, v[4:5]
	v_add_co_u32 v4, vcc_lo, s2, v4
	s_wait_alu 0xfffd
	s_delay_alu instid0(VALU_DEP_2)
	v_add_co_ci_u32_e32 v5, vcc_lo, s3, v5, vcc_lo
	global_store_b64 v[6:7], v[0:1], off
	global_load_b64 v[6:7], v[8:9], off
	ds_load_2addr_b64 v[0:3], v10 offset0:48 offset1:56
	s_wait_loadcnt_dscnt 0x0
	v_add_f64_e32 v[0:1], v[0:1], v[6:7]
	global_store_b64 v[8:9], v[0:1], off
	global_load_b64 v[0:1], v[4:5], off
	s_wait_loadcnt 0x0
	v_add_f64_e32 v[0:1], v[2:3], v[0:1]
	global_store_b64 v[4:5], v[0:1], off
	s_nop 0
	s_sendmsg sendmsg(MSG_DEALLOC_VGPRS)
	s_endpgm
	.section	.rodata,"a",@progbits
	.p2align	6, 0x0
	.amdhsa_kernel _Z18transposeCoalescediPdS_
		.amdhsa_group_segment_fixed_size 32768
		.amdhsa_private_segment_fixed_size 0
		.amdhsa_kernarg_size 280
		.amdhsa_user_sgpr_count 2
		.amdhsa_user_sgpr_dispatch_ptr 0
		.amdhsa_user_sgpr_queue_ptr 0
		.amdhsa_user_sgpr_kernarg_segment_ptr 1
		.amdhsa_user_sgpr_dispatch_id 0
		.amdhsa_user_sgpr_private_segment_size 0
		.amdhsa_wavefront_size32 1
		.amdhsa_uses_dynamic_stack 0
		.amdhsa_enable_private_segment 0
		.amdhsa_system_sgpr_workgroup_id_x 1
		.amdhsa_system_sgpr_workgroup_id_y 1
		.amdhsa_system_sgpr_workgroup_id_z 0
		.amdhsa_system_sgpr_workgroup_info 0
		.amdhsa_system_vgpr_workitem_id 1
		.amdhsa_next_free_vgpr 27
		.amdhsa_next_free_sgpr 8
		.amdhsa_reserve_vcc 1
		.amdhsa_float_round_mode_32 0
		.amdhsa_float_round_mode_16_64 0
		.amdhsa_float_denorm_mode_32 3
		.amdhsa_float_denorm_mode_16_64 3
		.amdhsa_fp16_overflow 0
		.amdhsa_workgroup_processor_mode 1
		.amdhsa_memory_ordered 1
		.amdhsa_forward_progress 0
		.amdhsa_round_robin_scheduling 0
		.amdhsa_exception_fp_ieee_invalid_op 0
		.amdhsa_exception_fp_denorm_src 0
		.amdhsa_exception_fp_ieee_div_zero 0
		.amdhsa_exception_fp_ieee_overflow 0
		.amdhsa_exception_fp_ieee_underflow 0
		.amdhsa_exception_fp_ieee_inexact 0
		.amdhsa_exception_int_div_zero 0
	.end_amdhsa_kernel
	.text
.Lfunc_end1:
	.size	_Z18transposeCoalescediPdS_, .Lfunc_end1-_Z18transposeCoalescediPdS_
                                        ; -- End function
	.section	.AMDGPU.csdata,"",@progbits
; Kernel info:
; codeLenInByte = 1216
; NumSgprs: 10
; NumVgprs: 27
; ScratchSize: 0
; MemoryBound: 1
; FloatMode: 240
; IeeeMode: 1
; LDSByteSize: 32768 bytes/workgroup (compile time only)
; SGPRBlocks: 1
; VGPRBlocks: 3
; NumSGPRsForWavesPerEU: 10
; NumVGPRsForWavesPerEU: 27
; Occupancy: 16
; WaveLimiterHint : 1
; COMPUTE_PGM_RSRC2:SCRATCH_EN: 0
; COMPUTE_PGM_RSRC2:USER_SGPR: 2
; COMPUTE_PGM_RSRC2:TRAP_HANDLER: 0
; COMPUTE_PGM_RSRC2:TGID_X_EN: 1
; COMPUTE_PGM_RSRC2:TGID_Y_EN: 1
; COMPUTE_PGM_RSRC2:TGID_Z_EN: 0
; COMPUTE_PGM_RSRC2:TIDIG_COMP_CNT: 1
	.text
	.protected	_Z14transposeNaiveiPdS_ ; -- Begin function _Z14transposeNaiveiPdS_
	.globl	_Z14transposeNaiveiPdS_
	.p2align	8
	.type	_Z14transposeNaiveiPdS_,@function
_Z14transposeNaiveiPdS_:                ; @_Z14transposeNaiveiPdS_
; %bb.0:
	s_load_b32 s4, s[0:1], 0x18
	v_and_b32_e32 v1, 0x3ff, v0
	v_bfe_u32 v2, v0, 10, 10
	s_load_b128 s[0:3], s[0:1], 0x8
	s_delay_alu instid0(VALU_DEP_2) | instskip(NEXT) | instid1(VALU_DEP_2)
	v_lshl_add_u32 v0, ttmp9, 6, v1
	v_lshl_add_u32 v1, ttmp7, 6, v2
	s_wait_kmcnt 0x0
	s_lshl_b32 s5, s4, 6
	s_lshl_b32 s4, s4, 9
	s_delay_alu instid0(VALU_DEP_1) | instskip(SKIP_1) | instid1(VALU_DEP_2)
	v_mad_co_u64_u32 v[2:3], null, v1, s5, v[0:1]
	v_mov_b32_e32 v3, 0
	v_mad_co_u64_u32 v[0:1], null, s5, v0, v[1:2]
	s_delay_alu instid0(VALU_DEP_2) | instskip(SKIP_1) | instid1(VALU_DEP_2)
	v_lshlrev_b64_e32 v[4:5], 3, v[2:3]
	v_dual_mov_b32 v1, v3 :: v_dual_add_nc_u32 v2, s4, v2
	v_add_co_u32 v4, vcc_lo, s0, v4
	s_delay_alu instid0(VALU_DEP_2) | instskip(NEXT) | instid1(VALU_DEP_4)
	v_lshlrev_b64_e32 v[6:7], 3, v[0:1]
	v_add_co_ci_u32_e32 v5, vcc_lo, s1, v5, vcc_lo
	s_delay_alu instid0(VALU_DEP_2) | instskip(SKIP_1) | instid1(VALU_DEP_3)
	v_add_co_u32 v6, vcc_lo, s2, v6
	s_wait_alu 0xfffd
	v_add_co_ci_u32_e32 v7, vcc_lo, s3, v7, vcc_lo
	global_load_b64 v[8:9], v[4:5], off
	global_load_b64 v[10:11], v[6:7], off
	s_wait_loadcnt 0x0
	v_add_f64_e32 v[8:9], v[8:9], v[10:11]
	v_lshlrev_b64_e32 v[10:11], 3, v[2:3]
	v_add_nc_u32_e32 v2, s4, v2
	s_delay_alu instid0(VALU_DEP_2) | instskip(SKIP_1) | instid1(VALU_DEP_3)
	v_add_co_u32 v10, vcc_lo, s0, v10
	s_wait_alu 0xfffd
	v_add_co_ci_u32_e32 v11, vcc_lo, s1, v11, vcc_lo
	global_store_b64 v[6:7], v[8:9], off
	v_add_nc_u32_e32 v8, 8, v0
	global_load_b64 v[6:7], v[4:5], off
	v_mov_b32_e32 v9, v3
	s_delay_alu instid0(VALU_DEP_1) | instskip(NEXT) | instid1(VALU_DEP_1)
	v_lshlrev_b64_e32 v[8:9], 3, v[8:9]
	v_add_co_u32 v8, vcc_lo, s2, v8
	s_wait_alu 0xfffd
	s_delay_alu instid0(VALU_DEP_2)
	v_add_co_ci_u32_e32 v9, vcc_lo, s3, v9, vcc_lo
	s_wait_loadcnt 0x0
	v_add_f64_e32 v[6:7], 1.0, v[6:7]
	global_store_b64 v[4:5], v[6:7], off
	global_load_b64 v[4:5], v[10:11], off
	global_load_b64 v[6:7], v[8:9], off
	s_wait_loadcnt 0x0
	v_add_f64_e32 v[4:5], v[4:5], v[6:7]
	v_dual_mov_b32 v7, v3 :: v_dual_add_nc_u32 v6, 16, v0
	s_delay_alu instid0(VALU_DEP_1) | instskip(SKIP_4) | instid1(VALU_DEP_2)
	v_lshlrev_b64_e32 v[6:7], 3, v[6:7]
	global_store_b64 v[8:9], v[4:5], off
	global_load_b64 v[4:5], v[10:11], off
	v_lshlrev_b64_e32 v[8:9], 3, v[2:3]
	v_add_nc_u32_e32 v2, s4, v2
	v_add_co_u32 v8, vcc_lo, s0, v8
	s_wait_alu 0xfffd
	s_delay_alu instid0(VALU_DEP_3)
	v_add_co_ci_u32_e32 v9, vcc_lo, s1, v9, vcc_lo
	v_add_co_u32 v6, vcc_lo, s2, v6
	s_wait_alu 0xfffd
	v_add_co_ci_u32_e32 v7, vcc_lo, s3, v7, vcc_lo
	s_wait_loadcnt 0x0
	v_add_f64_e32 v[4:5], 1.0, v[4:5]
	global_store_b64 v[10:11], v[4:5], off
	global_load_b64 v[4:5], v[8:9], off
	global_load_b64 v[10:11], v[6:7], off
	s_wait_loadcnt 0x0
	v_add_f64_e32 v[4:5], v[4:5], v[10:11]
	global_store_b64 v[6:7], v[4:5], off
	v_mov_b32_e32 v7, v3
	global_load_b64 v[4:5], v[8:9], off
	v_add_nc_u32_e32 v6, 24, v0
	v_lshlrev_b64_e32 v[10:11], 3, v[2:3]
	v_add_nc_u32_e32 v2, s4, v2
	s_delay_alu instid0(VALU_DEP_3) | instskip(NEXT) | instid1(VALU_DEP_3)
	v_lshlrev_b64_e32 v[6:7], 3, v[6:7]
	v_add_co_u32 v10, vcc_lo, s0, v10
	s_wait_alu 0xfffd
	s_delay_alu instid0(VALU_DEP_4) | instskip(NEXT) | instid1(VALU_DEP_3)
	v_add_co_ci_u32_e32 v11, vcc_lo, s1, v11, vcc_lo
	v_add_co_u32 v6, vcc_lo, s2, v6
	s_wait_alu 0xfffd
	v_add_co_ci_u32_e32 v7, vcc_lo, s3, v7, vcc_lo
	s_wait_loadcnt 0x0
	v_add_f64_e32 v[4:5], 1.0, v[4:5]
	global_store_b64 v[8:9], v[4:5], off
	global_load_b64 v[4:5], v[10:11], off
	global_load_b64 v[8:9], v[6:7], off
	s_wait_loadcnt 0x0
	v_add_f64_e32 v[4:5], v[4:5], v[8:9]
	v_lshlrev_b64_e32 v[8:9], 3, v[2:3]
	s_delay_alu instid0(VALU_DEP_1) | instskip(SKIP_1) | instid1(VALU_DEP_2)
	v_add_co_u32 v8, vcc_lo, s0, v8
	s_wait_alu 0xfffd
	v_add_co_ci_u32_e32 v9, vcc_lo, s1, v9, vcc_lo
	global_store_b64 v[6:7], v[4:5], off
	global_load_b64 v[4:5], v[10:11], off
	v_dual_mov_b32 v7, v3 :: v_dual_add_nc_u32 v6, 32, v0
	s_delay_alu instid0(VALU_DEP_1) | instskip(NEXT) | instid1(VALU_DEP_1)
	v_lshlrev_b64_e32 v[6:7], 3, v[6:7]
	v_add_co_u32 v6, vcc_lo, s2, v6
	s_wait_alu 0xfffd
	s_delay_alu instid0(VALU_DEP_2)
	v_add_co_ci_u32_e32 v7, vcc_lo, s3, v7, vcc_lo
	s_wait_loadcnt 0x0
	v_add_f64_e32 v[4:5], 1.0, v[4:5]
	global_store_b64 v[10:11], v[4:5], off
	global_load_b64 v[4:5], v[8:9], off
	global_load_b64 v[10:11], v[6:7], off
	s_wait_loadcnt 0x0
	v_add_f64_e32 v[4:5], v[4:5], v[10:11]
	global_store_b64 v[6:7], v[4:5], off
	global_load_b64 v[4:5], v[8:9], off
	v_dual_mov_b32 v7, v3 :: v_dual_add_nc_u32 v2, s4, v2
	v_add_nc_u32_e32 v6, 40, v0
	s_delay_alu instid0(VALU_DEP_2) | instskip(NEXT) | instid1(VALU_DEP_2)
	v_lshlrev_b64_e32 v[10:11], 3, v[2:3]
	v_lshlrev_b64_e32 v[6:7], 3, v[6:7]
	v_add_nc_u32_e32 v2, s4, v2
	s_delay_alu instid0(VALU_DEP_3) | instskip(SKIP_1) | instid1(VALU_DEP_4)
	v_add_co_u32 v10, vcc_lo, s0, v10
	s_wait_alu 0xfffd
	v_add_co_ci_u32_e32 v11, vcc_lo, s1, v11, vcc_lo
	s_delay_alu instid0(VALU_DEP_4)
	v_add_co_u32 v6, vcc_lo, s2, v6
	s_wait_alu 0xfffd
	v_add_co_ci_u32_e32 v7, vcc_lo, s3, v7, vcc_lo
	s_wait_loadcnt 0x0
	v_add_f64_e32 v[4:5], 1.0, v[4:5]
	global_store_b64 v[8:9], v[4:5], off
	global_load_b64 v[4:5], v[10:11], off
	global_load_b64 v[8:9], v[6:7], off
	s_wait_loadcnt 0x0
	v_add_f64_e32 v[4:5], v[4:5], v[8:9]
	v_lshlrev_b64_e32 v[8:9], 3, v[2:3]
	v_add_nc_u32_e32 v2, s4, v2
	s_delay_alu instid0(VALU_DEP_2) | instskip(SKIP_1) | instid1(VALU_DEP_3)
	v_add_co_u32 v8, vcc_lo, s0, v8
	s_wait_alu 0xfffd
	v_add_co_ci_u32_e32 v9, vcc_lo, s1, v9, vcc_lo
	global_store_b64 v[6:7], v[4:5], off
	v_mov_b32_e32 v7, v3
	global_load_b64 v[4:5], v[10:11], off
	v_add_nc_u32_e32 v6, 48, v0
	s_delay_alu instid0(VALU_DEP_1) | instskip(NEXT) | instid1(VALU_DEP_1)
	v_lshlrev_b64_e32 v[6:7], 3, v[6:7]
	v_add_co_u32 v6, vcc_lo, s2, v6
	s_wait_alu 0xfffd
	s_delay_alu instid0(VALU_DEP_2)
	v_add_co_ci_u32_e32 v7, vcc_lo, s3, v7, vcc_lo
	s_wait_loadcnt 0x0
	v_add_f64_e32 v[4:5], 1.0, v[4:5]
	global_store_b64 v[10:11], v[4:5], off
	global_load_b64 v[4:5], v[8:9], off
	global_load_b64 v[10:11], v[6:7], off
	s_wait_loadcnt 0x0
	v_add_f64_e32 v[4:5], v[4:5], v[10:11]
	global_store_b64 v[6:7], v[4:5], off
	global_load_b64 v[4:5], v[8:9], off
	v_lshlrev_b64_e32 v[6:7], 3, v[2:3]
	v_add_nc_u32_e32 v2, 56, v0
	s_delay_alu instid0(VALU_DEP_1) | instskip(NEXT) | instid1(VALU_DEP_3)
	v_lshlrev_b64_e32 v[0:1], 3, v[2:3]
	v_add_co_u32 v2, vcc_lo, s0, v6
	s_wait_alu 0xfffd
	s_delay_alu instid0(VALU_DEP_4) | instskip(NEXT) | instid1(VALU_DEP_3)
	v_add_co_ci_u32_e32 v3, vcc_lo, s1, v7, vcc_lo
	v_add_co_u32 v0, vcc_lo, s2, v0
	s_wait_alu 0xfffd
	v_add_co_ci_u32_e32 v1, vcc_lo, s3, v1, vcc_lo
	s_wait_loadcnt 0x0
	v_add_f64_e32 v[4:5], 1.0, v[4:5]
	global_store_b64 v[8:9], v[4:5], off
	global_load_b64 v[4:5], v[2:3], off
	global_load_b64 v[6:7], v[0:1], off
	s_wait_loadcnt 0x0
	v_add_f64_e32 v[4:5], v[4:5], v[6:7]
	global_store_b64 v[0:1], v[4:5], off
	global_load_b64 v[0:1], v[2:3], off
	s_wait_loadcnt 0x0
	v_add_f64_e32 v[0:1], 1.0, v[0:1]
	global_store_b64 v[2:3], v[0:1], off
	s_nop 0
	s_sendmsg sendmsg(MSG_DEALLOC_VGPRS)
	s_endpgm
	.section	.rodata,"a",@progbits
	.p2align	6, 0x0
	.amdhsa_kernel _Z14transposeNaiveiPdS_
		.amdhsa_group_segment_fixed_size 0
		.amdhsa_private_segment_fixed_size 0
		.amdhsa_kernarg_size 280
		.amdhsa_user_sgpr_count 2
		.amdhsa_user_sgpr_dispatch_ptr 0
		.amdhsa_user_sgpr_queue_ptr 0
		.amdhsa_user_sgpr_kernarg_segment_ptr 1
		.amdhsa_user_sgpr_dispatch_id 0
		.amdhsa_user_sgpr_private_segment_size 0
		.amdhsa_wavefront_size32 1
		.amdhsa_uses_dynamic_stack 0
		.amdhsa_enable_private_segment 0
		.amdhsa_system_sgpr_workgroup_id_x 1
		.amdhsa_system_sgpr_workgroup_id_y 1
		.amdhsa_system_sgpr_workgroup_id_z 0
		.amdhsa_system_sgpr_workgroup_info 0
		.amdhsa_system_vgpr_workitem_id 1
		.amdhsa_next_free_vgpr 12
		.amdhsa_next_free_sgpr 6
		.amdhsa_reserve_vcc 1
		.amdhsa_float_round_mode_32 0
		.amdhsa_float_round_mode_16_64 0
		.amdhsa_float_denorm_mode_32 3
		.amdhsa_float_denorm_mode_16_64 3
		.amdhsa_fp16_overflow 0
		.amdhsa_workgroup_processor_mode 1
		.amdhsa_memory_ordered 1
		.amdhsa_forward_progress 0
		.amdhsa_round_robin_scheduling 0
		.amdhsa_exception_fp_ieee_invalid_op 0
		.amdhsa_exception_fp_denorm_src 0
		.amdhsa_exception_fp_ieee_div_zero 0
		.amdhsa_exception_fp_ieee_overflow 0
		.amdhsa_exception_fp_ieee_underflow 0
		.amdhsa_exception_fp_ieee_inexact 0
		.amdhsa_exception_int_div_zero 0
	.end_amdhsa_kernel
	.text
.Lfunc_end2:
	.size	_Z14transposeNaiveiPdS_, .Lfunc_end2-_Z14transposeNaiveiPdS_
                                        ; -- End function
	.section	.AMDGPU.csdata,"",@progbits
; Kernel info:
; codeLenInByte = 1192
; NumSgprs: 8
; NumVgprs: 12
; ScratchSize: 0
; MemoryBound: 1
; FloatMode: 240
; IeeeMode: 1
; LDSByteSize: 0 bytes/workgroup (compile time only)
; SGPRBlocks: 0
; VGPRBlocks: 1
; NumSGPRsForWavesPerEU: 8
; NumVGPRsForWavesPerEU: 12
; Occupancy: 16
; WaveLimiterHint : 1
; COMPUTE_PGM_RSRC2:SCRATCH_EN: 0
; COMPUTE_PGM_RSRC2:USER_SGPR: 2
; COMPUTE_PGM_RSRC2:TRAP_HANDLER: 0
; COMPUTE_PGM_RSRC2:TGID_X_EN: 1
; COMPUTE_PGM_RSRC2:TGID_Y_EN: 1
; COMPUTE_PGM_RSRC2:TGID_Z_EN: 0
; COMPUTE_PGM_RSRC2:TIDIG_COMP_CNT: 1
	.text
	.p2alignl 7, 3214868480
	.fill 96, 4, 3214868480
	.type	__hip_cuid_3d011fd96f146e9b,@object ; @__hip_cuid_3d011fd96f146e9b
	.section	.bss,"aw",@nobits
	.globl	__hip_cuid_3d011fd96f146e9b
__hip_cuid_3d011fd96f146e9b:
	.byte	0                               ; 0x0
	.size	__hip_cuid_3d011fd96f146e9b, 1

	.ident	"AMD clang version 19.0.0git (https://github.com/RadeonOpenCompute/llvm-project roc-6.4.0 25133 c7fe45cf4b819c5991fe208aaa96edf142730f1d)"
	.section	".note.GNU-stack","",@progbits
	.addrsig
	.addrsig_sym __hip_cuid_3d011fd96f146e9b
	.amdgpu_metadata
---
amdhsa.kernels:
  - .args:
      - .offset:         0
        .size:           4
        .value_kind:     by_value
      - .address_space:  global
        .offset:         8
        .size:           8
        .value_kind:     global_buffer
      - .address_space:  global
        .offset:         16
        .size:           8
        .value_kind:     global_buffer
      - .offset:         24
        .size:           4
        .value_kind:     hidden_block_count_x
      - .offset:         28
        .size:           4
        .value_kind:     hidden_block_count_y
      - .offset:         32
        .size:           4
        .value_kind:     hidden_block_count_z
      - .offset:         36
        .size:           2
        .value_kind:     hidden_group_size_x
      - .offset:         38
        .size:           2
        .value_kind:     hidden_group_size_y
      - .offset:         40
        .size:           2
        .value_kind:     hidden_group_size_z
      - .offset:         42
        .size:           2
        .value_kind:     hidden_remainder_x
      - .offset:         44
        .size:           2
        .value_kind:     hidden_remainder_y
      - .offset:         46
        .size:           2
        .value_kind:     hidden_remainder_z
      - .offset:         64
        .size:           8
        .value_kind:     hidden_global_offset_x
      - .offset:         72
        .size:           8
        .value_kind:     hidden_global_offset_y
      - .offset:         80
        .size:           8
        .value_kind:     hidden_global_offset_z
      - .offset:         88
        .size:           2
        .value_kind:     hidden_grid_dims
    .group_segment_fixed_size: 33280
    .kernarg_segment_align: 8
    .kernarg_segment_size: 280
    .language:       OpenCL C
    .language_version:
      - 2
      - 0
    .max_flat_workgroup_size: 1024
    .name:           _Z23transposeNoBankConflictiPdS_
    .private_segment_fixed_size: 0
    .sgpr_count:     10
    .sgpr_spill_count: 0
    .symbol:         _Z23transposeNoBankConflictiPdS_.kd
    .uniform_work_group_size: 1
    .uses_dynamic_stack: false
    .vgpr_count:     27
    .vgpr_spill_count: 0
    .wavefront_size: 32
    .workgroup_processor_mode: 1
  - .args:
      - .offset:         0
        .size:           4
        .value_kind:     by_value
      - .address_space:  global
        .offset:         8
        .size:           8
        .value_kind:     global_buffer
      - .address_space:  global
        .offset:         16
        .size:           8
        .value_kind:     global_buffer
      - .offset:         24
        .size:           4
        .value_kind:     hidden_block_count_x
      - .offset:         28
        .size:           4
        .value_kind:     hidden_block_count_y
      - .offset:         32
        .size:           4
        .value_kind:     hidden_block_count_z
      - .offset:         36
        .size:           2
        .value_kind:     hidden_group_size_x
      - .offset:         38
        .size:           2
        .value_kind:     hidden_group_size_y
      - .offset:         40
        .size:           2
        .value_kind:     hidden_group_size_z
      - .offset:         42
        .size:           2
        .value_kind:     hidden_remainder_x
      - .offset:         44
        .size:           2
        .value_kind:     hidden_remainder_y
      - .offset:         46
        .size:           2
        .value_kind:     hidden_remainder_z
      - .offset:         64
        .size:           8
        .value_kind:     hidden_global_offset_x
      - .offset:         72
        .size:           8
        .value_kind:     hidden_global_offset_y
      - .offset:         80
        .size:           8
        .value_kind:     hidden_global_offset_z
      - .offset:         88
        .size:           2
        .value_kind:     hidden_grid_dims
    .group_segment_fixed_size: 32768
    .kernarg_segment_align: 8
    .kernarg_segment_size: 280
    .language:       OpenCL C
    .language_version:
      - 2
      - 0
    .max_flat_workgroup_size: 1024
    .name:           _Z18transposeCoalescediPdS_
    .private_segment_fixed_size: 0
    .sgpr_count:     10
    .sgpr_spill_count: 0
    .symbol:         _Z18transposeCoalescediPdS_.kd
    .uniform_work_group_size: 1
    .uses_dynamic_stack: false
    .vgpr_count:     27
    .vgpr_spill_count: 0
    .wavefront_size: 32
    .workgroup_processor_mode: 1
  - .args:
      - .offset:         0
        .size:           4
        .value_kind:     by_value
      - .address_space:  global
        .offset:         8
        .size:           8
        .value_kind:     global_buffer
      - .address_space:  global
        .offset:         16
        .size:           8
        .value_kind:     global_buffer
      - .offset:         24
        .size:           4
        .value_kind:     hidden_block_count_x
      - .offset:         28
        .size:           4
        .value_kind:     hidden_block_count_y
      - .offset:         32
        .size:           4
        .value_kind:     hidden_block_count_z
      - .offset:         36
        .size:           2
        .value_kind:     hidden_group_size_x
      - .offset:         38
        .size:           2
        .value_kind:     hidden_group_size_y
      - .offset:         40
        .size:           2
        .value_kind:     hidden_group_size_z
      - .offset:         42
        .size:           2
        .value_kind:     hidden_remainder_x
      - .offset:         44
        .size:           2
        .value_kind:     hidden_remainder_y
      - .offset:         46
        .size:           2
        .value_kind:     hidden_remainder_z
      - .offset:         64
        .size:           8
        .value_kind:     hidden_global_offset_x
      - .offset:         72
        .size:           8
        .value_kind:     hidden_global_offset_y
      - .offset:         80
        .size:           8
        .value_kind:     hidden_global_offset_z
      - .offset:         88
        .size:           2
        .value_kind:     hidden_grid_dims
    .group_segment_fixed_size: 0
    .kernarg_segment_align: 8
    .kernarg_segment_size: 280
    .language:       OpenCL C
    .language_version:
      - 2
      - 0
    .max_flat_workgroup_size: 1024
    .name:           _Z14transposeNaiveiPdS_
    .private_segment_fixed_size: 0
    .sgpr_count:     8
    .sgpr_spill_count: 0
    .symbol:         _Z14transposeNaiveiPdS_.kd
    .uniform_work_group_size: 1
    .uses_dynamic_stack: false
    .vgpr_count:     12
    .vgpr_spill_count: 0
    .wavefront_size: 32
    .workgroup_processor_mode: 1
amdhsa.target:   amdgcn-amd-amdhsa--gfx1201
amdhsa.version:
  - 1
  - 2
...

	.end_amdgpu_metadata
